;; amdgpu-corpus repo=zjin-lcf/HeCBench kind=compiled arch=gfx1030 opt=O3
	.amdgcn_target "amdgcn-amd-amdhsa--gfx1030"
	.amdhsa_code_object_version 6
	.text
	.protected	_Z14lstm_inferencePKfS0_S0_S0_S0_S0_Pf ; -- Begin function _Z14lstm_inferencePKfS0_S0_S0_S0_S0_Pf
	.globl	_Z14lstm_inferencePKfS0_S0_S0_S0_S0_Pf
	.p2align	8
	.type	_Z14lstm_inferencePKfS0_S0_S0_S0_S0_Pf,@function
_Z14lstm_inferencePKfS0_S0_S0_S0_S0_Pf: ; @_Z14lstm_inferencePKfS0_S0_S0_S0_S0_Pf
; %bb.0:
	s_load_dword s0, s[4:5], 0x44
	s_waitcnt lgkmcnt(0)
	s_and_b32 s0, s0, 0xffff
	v_mad_u64_u32 v[0:1], null, s6, s0, v[0:1]
	s_mov_b32 s0, exec_lo
	v_cmpx_gt_i32_e32 0x2000, v0
	s_cbranch_execz .LBB0_43
; %bb.1:
	s_clause 0x2
	s_load_dwordx4 s[8:11], s[4:5], 0x20
	s_load_dwordx8 s[16:23], s[4:5], 0x0
	; meta instruction
	s_load_dwordx2 s[2:3], s[4:5], 0x30
                                        ; implicit-def: $vgpr35 : SGPR spill to VGPR lane
	v_mul_lo_u32 v0, 0x4e20, v0
                                        ; implicit-def: $vgpr34 : SGPR spill to VGPR lane
                                        ; implicit-def: $vgpr33 : SGPR spill to VGPR lane
	v_mov_b32_e32 v5, 0
	v_mov_b32_e32 v6, 0
	;; [unrolled: 1-line block ×7, first 2 shown]
	v_ashrrev_i32_e32 v1, 31, v0
	v_mov_b32_e32 v18, 0
	v_mov_b32_e32 v13, 0
	v_mov_b32_e32 v10, 0
	s_waitcnt lgkmcnt(0)
	s_load_dword s1, s[10:11], 0x0
	s_load_dwordx16 s[68:83], s[18:19], 0x0
	s_load_dwordx16 s[36:51], s[20:21], 0x0
	v_lshlrev_b64 v[2:3], 2, v[0:1]
	v_add_co_u32 v0, vcc_lo, s16, v2
	v_add_co_ci_u32_e64 v1, null, s17, v3, vcc_lo
	v_add_co_u32 v2, vcc_lo, s2, v2
	v_add_co_ci_u32_e64 v3, null, s3, v3, vcc_lo
	s_mov_b64 s[2:3], 0
	s_waitcnt lgkmcnt(0)
	v_writelane_b32 v36, s36, 0
	v_writelane_b32 v36, s37, 1
	;; [unrolled: 1-line block ×16, first 2 shown]
	s_load_dwordx16 s[84:99], s[22:23], 0x0
	s_load_dwordx16 s[36:51], s[20:21], 0x40
	s_load_dwordx4 s[4:7], s[18:19], 0x40
	s_waitcnt lgkmcnt(0)
	v_writelane_b32 v36, s36, 16
	v_writelane_b32 v35, s4, 0
	;; [unrolled: 1-line block ×8, first 2 shown]
	s_load_dwordx4 s[4:7], s[22:23], 0x40
	s_clause 0x1
	s_load_dword s22, s[8:9], 0x10
	s_load_dwordx4 s[24:27], s[8:9], 0x0
	s_mov_b32 s23, 0xbbbac73d
	v_writelane_b32 v36, s40, 20
	v_writelane_b32 v36, s41, 21
	;; [unrolled: 1-line block ×4, first 2 shown]
	s_waitcnt lgkmcnt(0)
	v_writelane_b32 v35, s4, 4
	v_writelane_b32 v36, s44, 24
	;; [unrolled: 1-line block ×7, first 2 shown]
	s_clause 0x1
	s_load_dwordx4 s[28:31], s[20:21], 0x180
	s_load_dwordx16 s[4:19], s[20:21], 0x80
	v_writelane_b32 v36, s47, 27
	v_writelane_b32 v36, s48, 28
	;; [unrolled: 1-line block ×4, first 2 shown]
	s_waitcnt lgkmcnt(0)
	v_writelane_b32 v35, s4, 8
	v_writelane_b32 v36, s51, 31
	v_writelane_b32 v35, s5, 9
	v_writelane_b32 v35, s6, 10
	v_writelane_b32 v35, s7, 11
	v_writelane_b32 v35, s8, 12
	v_writelane_b32 v35, s9, 13
	v_writelane_b32 v35, s10, 14
	v_writelane_b32 v35, s11, 15
	v_writelane_b32 v35, s12, 16
	v_writelane_b32 v35, s13, 17
	v_writelane_b32 v35, s14, 18
	v_writelane_b32 v35, s15, 19
	v_writelane_b32 v35, s16, 20
	v_writelane_b32 v35, s17, 21
	v_writelane_b32 v35, s18, 22
	v_writelane_b32 v35, s19, 23
	s_clause 0x2
	s_load_dwordx16 s[4:19], s[20:21], 0xc0
	s_load_dwordx16 s[36:51], s[20:21], 0x100
	;; [unrolled: 1-line block ×3, first 2 shown]
	s_waitcnt lgkmcnt(0)
	v_writelane_b32 v35, s4, 24
	v_writelane_b32 v34, s12, 0
	;; [unrolled: 1-line block ×48, first 2 shown]
	s_branch .LBB0_3
.LBB0_2:                                ;   in Loop: Header=BB0_3 Depth=1
	s_or_b32 exec_lo, exec_lo, s0
	v_readlane_b32 s4, v35, 24
	v_readlane_b32 s6, v35, 26
	;; [unrolled: 1-line block ×6, first 2 shown]
	v_mul_f32_e32 v16, s6, v5
	v_readlane_b32 s9, v35, 29
	v_readlane_b32 s10, v35, 30
	v_readlane_b32 s11, v35, 31
	v_readlane_b32 s79, v34, 19
	v_fmac_f32_e32 v16, s78, v9
	v_readlane_b32 s12, v34, 0
	v_readlane_b32 s13, v34, 1
	v_readlane_b32 s14, v34, 2
	v_readlane_b32 s15, v34, 3
	v_fmac_f32_e32 v16, s7, v6
	;; [unrolled: 5-line block ×5, first 2 shown]
	v_readlane_b32 s72, v34, 12
	v_readlane_b32 s73, v34, 13
	;; [unrolled: 1-line block ×4, first 2 shown]
	v_add_f32_e32 v16, s94, v16
	v_readlane_b32 s76, v34, 16
	v_readlane_b32 s77, v34, 17
	v_mul_f32_e32 v21, 0xbfb8aa3b, v16
	v_cmp_nlt_f32_e32 vcc_lo, 0x42ce8ed0, v16
	v_cmp_ngt_f32_e64 s0, 0xc2b17218, v16
	v_fma_f32 v22, 0xbfb8aa3b, v16, -v21
	v_rndne_f32_e32 v23, v21
	v_fmac_f32_e32 v22, 0xb2a5705f, v16
	v_sub_f32_e32 v21, v21, v23
	v_add_f32_e32 v21, v21, v22
	v_cvt_i32_f32_e32 v22, v23
	v_exp_f32_e32 v21, v21
	v_ldexp_f32 v21, v21, v22
	v_cndmask_b32_e32 v16, 0, v21, vcc_lo
	v_cndmask_b32_e64 v16, 0x7f800000, v16, s0
	v_add_f32_e32 v16, 1.0, v16
	v_div_scale_f32 v21, null, v16, v16, 1.0
	v_rcp_f32_e32 v22, v21
	v_fma_f32 v23, -v21, v22, 1.0
	v_fmac_f32_e32 v22, v23, v22
	v_div_scale_f32 v23, vcc_lo, 1.0, v16, 1.0
	v_mul_f32_e32 v24, v23, v22
	v_fma_f32 v25, -v21, v24, v23
	v_fmac_f32_e32 v24, v25, v22
	v_fma_f32 v21, -v21, v24, v23
	v_div_fmas_f32 v21, v21, v22, v24
	v_mul_f32_e32 v22, s11, v5
	v_fmac_f32_e32 v22, s79, v9
	v_fmac_f32_e32 v22, s12, v6
	;; [unrolled: 1-line block ×5, first 2 shown]
	v_add_f32_e32 v22, s95, v22
	v_mul_f32_e32 v23, 0xbfb8aa3b, v22
	v_cmp_nlt_f32_e32 vcc_lo, 0x42ce8ed0, v22
	v_cmp_ngt_f32_e64 s0, 0xc2b17218, v22
	v_fma_f32 v24, 0xbfb8aa3b, v22, -v23
	v_rndne_f32_e32 v25, v23
	v_fmac_f32_e32 v24, 0xb2a5705f, v22
	v_sub_f32_e32 v23, v23, v25
	v_add_f32_e32 v23, v23, v24
	v_cvt_i32_f32_e32 v24, v25
	v_exp_f32_e32 v23, v23
	v_ldexp_f32 v23, v23, v24
	v_cndmask_b32_e32 v22, 0, v23, vcc_lo
	v_cndmask_b32_e64 v22, 0x7f800000, v22, s0
	v_add_f32_e32 v22, 1.0, v22
	v_div_scale_f32 v23, null, v22, v22, 1.0
	v_rcp_f32_e32 v24, v23
	v_fma_f32 v25, -v23, v24, 1.0
	v_fmac_f32_e32 v24, v25, v24
	v_div_scale_f32 v25, vcc_lo, 1.0, v22, 1.0
	v_mul_f32_e32 v26, v25, v24
	v_fma_f32 v27, -v23, v26, v25
	v_fmac_f32_e32 v26, v27, v24
	v_fma_f32 v23, -v23, v26, v25
	v_div_fmas_f32 v23, v23, v24, v26
	v_mul_f32_e32 v24, s16, v5
	v_fmac_f32_e32 v24, s80, v9
	v_fmac_f32_e32 v24, s17, v6
	;; [unrolled: 1-line block ×5, first 2 shown]
	v_add_f32_e32 v24, s96, v24
	v_mul_f32_e32 v25, 0xbfb8aa3b, v24
	v_cmp_nlt_f32_e32 vcc_lo, 0x42ce8ed0, v24
	v_cmp_ngt_f32_e64 s0, 0xc2b17218, v24
	v_fma_f32 v26, 0xbfb8aa3b, v24, -v25
	v_rndne_f32_e32 v27, v25
	v_fmac_f32_e32 v26, 0xb2a5705f, v24
	v_sub_f32_e32 v25, v25, v27
	v_add_f32_e32 v25, v25, v26
	v_cvt_i32_f32_e32 v26, v27
	v_exp_f32_e32 v25, v25
	v_ldexp_f32 v25, v25, v26
	v_cndmask_b32_e32 v24, 0, v25, vcc_lo
	v_cndmask_b32_e64 v24, 0x7f800000, v24, s0
	v_add_f32_e32 v24, 1.0, v24
	v_div_scale_f32 v25, null, v24, v24, 1.0
	v_rcp_f32_e32 v26, v25
	v_fma_f32 v27, -v25, v26, 1.0
	v_fmac_f32_e32 v26, v27, v26
	v_div_scale_f32 v27, vcc_lo, 1.0, v24, 1.0
	v_mul_f32_e32 v28, v27, v26
	v_fma_f32 v29, -v25, v28, v27
	v_fmac_f32_e32 v28, v29, v26
	v_fma_f32 v25, -v25, v28, v27
	v_div_fmas_f32 v25, v25, v26, v28
	v_mul_f32_e32 v26, s37, v5
	v_mul_f32_e32 v5, s42, v5
	v_fmac_f32_e32 v26, s81, v9
	v_fmac_f32_e32 v5, s82, v9
	;; [unrolled: 1-line block ×10, first 2 shown]
	v_add_f32_e32 v26, s97, v26
	v_add_f32_e32 v4, s98, v5
	v_mul_f32_e32 v27, 0xbfb8aa3b, v26
	v_cmp_nlt_f32_e32 vcc_lo, 0x42ce8ed0, v26
	v_cmp_ngt_f32_e64 s0, 0xc2b17218, v26
	v_mul_f32_e32 v5, 0xbfb8aa3b, v4
	v_fma_f32 v28, 0xbfb8aa3b, v26, -v27
	v_rndne_f32_e32 v29, v27
	v_fma_f32 v6, 0xbfb8aa3b, v4, -v5
	v_rndne_f32_e32 v7, v5
	v_fmac_f32_e32 v28, 0xb2a5705f, v26
	v_sub_f32_e32 v27, v27, v29
	v_fmac_f32_e32 v6, 0xb2a5705f, v4
	v_sub_f32_e32 v5, v5, v7
	v_add_f32_e32 v27, v27, v28
	v_cvt_i32_f32_e32 v28, v29
	v_add_f32_e32 v5, v5, v6
	v_cvt_i32_f32_e32 v6, v7
	v_exp_f32_e32 v27, v27
	v_exp_f32_e32 v5, v5
	v_ldexp_f32 v27, v27, v28
	v_ldexp_f32 v5, v5, v6
	v_cndmask_b32_e32 v26, 0, v27, vcc_lo
	v_cndmask_b32_e64 v26, 0x7f800000, v26, s0
	v_cmp_ngt_f32_e64 s0, 0xc2b17218, v4
	v_add_f32_e32 v26, 1.0, v26
	v_div_scale_f32 v27, null, v26, v26, 1.0
	v_rcp_f32_e32 v28, v27
	v_fma_f32 v29, -v27, v28, 1.0
	v_fmac_f32_e32 v28, v29, v28
	v_div_scale_f32 v29, vcc_lo, 1.0, v26, 1.0
	v_mul_f32_e32 v30, v29, v28
	v_fma_f32 v31, -v27, v30, v29
	v_fmac_f32_e32 v30, v31, v28
	v_fma_f32 v27, -v27, v30, v29
	v_div_fmas_f32 v27, v27, v28, v30
	v_cmp_nlt_f32_e32 vcc_lo, 0x42ce8ed0, v4
	v_cndmask_b32_e32 v4, 0, v5, vcc_lo
	v_cndmask_b32_e64 v4, 0x7f800000, v4, s0
	v_add_f32_e32 v4, 1.0, v4
	v_div_scale_f32 v5, null, v4, v4, 1.0
	v_rcp_f32_e32 v6, v5
	v_fma_f32 v7, -v5, v6, 1.0
	v_fmac_f32_e32 v6, v7, v6
	v_div_scale_f32 v7, vcc_lo, 1.0, v4, 1.0
	v_mul_f32_e32 v8, v7, v6
	v_fma_f32 v9, -v5, v8, v7
	v_fmac_f32_e32 v8, v9, v6
	v_div_fixup_f32 v9, v27, v26, 1.0
	v_fma_f32 v5, -v5, v8, v7
	v_bfi_b32 v7, 0x7fffffff, v12, v11
	v_bfi_b32 v12, 0x7fffffff, v18, v20
	v_mov_b32_e32 v18, v20
	v_div_fmas_f32 v5, v5, v6, v8
	v_div_fixup_f32 v6, v21, v16, 1.0
	v_bfi_b32 v8, 0x7fffffff, v17, v14
	v_mov_b32_e32 v17, v14
	v_div_fixup_f32 v4, v5, v4, 1.0
	v_mul_f32_e32 v7, v6, v7
	v_div_fixup_f32 v6, v23, v22, 1.0
	v_bfi_b32 v5, 0x7fffffff, v10, v15
	v_fma_f32 v10, v7, s24, s1
	v_mul_f32_e32 v8, v6, v8
	v_div_fixup_f32 v6, v25, v24, 1.0
	v_mul_f32_e32 v4, v4, v5
	v_add_co_u32 v5, vcc_lo, v2, s2
	v_fmac_f32_e32 v10, s25, v8
	v_mul_f32_e32 v12, v6, v12
	v_bfi_b32 v6, 0x7fffffff, v13, v19
	v_mov_b32_e32 v13, v19
	s_add_u32 s2, s2, 4
	v_fmac_f32_e32 v10, s26, v12
	v_mul_f32_e32 v9, v9, v6
	v_add_co_ci_u32_e64 v6, null, s3, v3, vcc_lo
	s_addc_u32 s3, s3, 0
	s_cmp_lg_u32 s2, 0x13880
	v_fmac_f32_e32 v10, s27, v9
	v_fmac_f32_e32 v10, s22, v4
	global_store_dword v[5:6], v10, off
	v_mov_b32_e32 v5, v7
	v_mov_b32_e32 v6, v8
	;; [unrolled: 1-line block ×6, first 2 shown]
	s_cbranch_scc0 .LBB0_43
.LBB0_3:                                ; =>This Inner Loop Header: Depth=1
	v_add_co_u32 v14, vcc_lo, v0, s2
	v_add_co_ci_u32_e64 v15, null, s3, v1, vcc_lo
	v_mul_f32_e32 v11, s47, v5
                                        ; implicit-def: $vgpr24
	global_load_dword v9, v[14:15], off
	s_waitcnt vmcnt(0)
	v_fmac_f32_e32 v11, s83, v9
	v_fmac_f32_e32 v11, s48, v6
	;; [unrolled: 1-line block ×5, first 2 shown]
	v_add_f32_e32 v11, s99, v11
	v_cmp_ngt_f32_e64 s0, 0x3f200000, |v11|
	s_and_saveexec_b32 s20, s0
	s_xor_b32 s0, exec_lo, s20
	s_cbranch_execz .LBB0_5
; %bb.4:                                ;   in Loop: Header=BB0_3 Depth=1
	v_add_f32_e64 v14, |v11|, |v11|
	v_mul_f32_e32 v15, 0x3fb8aa3b, v14
	v_cmp_ngt_f32_e32 vcc_lo, 0xc2ce8ed0, v14
	v_rndne_f32_e32 v16, v15
	v_fma_f32 v19, 0x3fb8aa3b, v14, -v15
	v_sub_f32_e32 v15, v15, v16
	v_fmac_f32_e32 v19, 0x32a5705f, v14
	v_cvt_i32_f32_e32 v16, v16
	v_add_f32_e32 v15, v15, v19
	v_exp_f32_e32 v15, v15
	v_ldexp_f32 v15, v15, v16
	v_cndmask_b32_e32 v15, 0, v15, vcc_lo
	v_cmp_nlt_f32_e32 vcc_lo, 0x42b17218, v14
	v_cndmask_b32_e32 v14, 0x7f800000, v15, vcc_lo
	v_add_f32_e32 v14, 1.0, v14
	v_rcp_f32_e32 v14, v14
	v_fma_f32 v24, v14, -2.0, 1.0
.LBB0_5:                                ;   in Loop: Header=BB0_3 Depth=1
	s_andn2_saveexec_b32 s0, s0
	s_cbranch_execz .LBB0_7
; %bb.6:                                ;   in Loop: Header=BB0_3 Depth=1
	v_mul_f32_e32 v14, v11, v11
	v_fmaak_f32 v15, s23, v14, 0x3ca908c9
	v_fmaak_f32 v15, v14, v15, 0xbd5c1c4e
	;; [unrolled: 1-line block ×4, first 2 shown]
	v_mul_f32_e64 v15, |v11|, v15
	v_fma_f32 v24, v14, v15, |v11|
.LBB0_7:                                ;   in Loop: Header=BB0_3 Depth=1
	s_or_b32 exec_lo, exec_lo, s0
	v_mul_f32_e32 v14, s52, v5
	v_readlane_b32 s4, v35, 0
	v_readlane_b32 s5, v35, 1
	;; [unrolled: 1-line block ×4, first 2 shown]
                                        ; implicit-def: $vgpr23
	v_fmac_f32_e32 v14, s4, v9
	v_readlane_b32 s4, v35, 4
	v_readlane_b32 s5, v35, 5
	;; [unrolled: 1-line block ×4, first 2 shown]
	v_fmac_f32_e32 v14, s53, v6
	v_fmac_f32_e32 v14, s54, v7
	v_fmac_f32_e32 v14, s55, v8
	v_fmac_f32_e32 v14, s56, v4
	v_add_f32_e32 v14, s4, v14
	v_cmp_ngt_f32_e64 s0, 0x3f200000, |v14|
	s_and_saveexec_b32 s20, s0
	s_xor_b32 s0, exec_lo, s20
	s_cbranch_execz .LBB0_9
; %bb.8:                                ;   in Loop: Header=BB0_3 Depth=1
	v_add_f32_e64 v15, |v14|, |v14|
	v_mul_f32_e32 v16, 0x3fb8aa3b, v15
	v_cmp_ngt_f32_e32 vcc_lo, 0xc2ce8ed0, v15
	v_rndne_f32_e32 v19, v16
	v_fma_f32 v20, 0x3fb8aa3b, v15, -v16
	v_sub_f32_e32 v16, v16, v19
	v_fmac_f32_e32 v20, 0x32a5705f, v15
	v_cvt_i32_f32_e32 v19, v19
	v_add_f32_e32 v16, v16, v20
	v_exp_f32_e32 v16, v16
	v_ldexp_f32 v16, v16, v19
	v_cndmask_b32_e32 v16, 0, v16, vcc_lo
	v_cmp_nlt_f32_e32 vcc_lo, 0x42b17218, v15
	v_cndmask_b32_e32 v15, 0x7f800000, v16, vcc_lo
	v_add_f32_e32 v15, 1.0, v15
	v_rcp_f32_e32 v15, v15
	v_fma_f32 v23, v15, -2.0, 1.0
.LBB0_9:                                ;   in Loop: Header=BB0_3 Depth=1
	s_andn2_saveexec_b32 s0, s0
	s_cbranch_execz .LBB0_11
; %bb.10:                               ;   in Loop: Header=BB0_3 Depth=1
	v_mul_f32_e32 v15, v14, v14
	v_fmaak_f32 v16, s23, v15, 0x3ca908c9
	v_fmaak_f32 v16, v15, v16, 0xbd5c1c4e
	;; [unrolled: 1-line block ×4, first 2 shown]
	v_mul_f32_e64 v16, |v14|, v16
	v_fma_f32 v23, v15, v16, |v14|
.LBB0_11:                               ;   in Loop: Header=BB0_3 Depth=1
	s_or_b32 exec_lo, exec_lo, s0
	v_readlane_b32 s4, v35, 0
	v_mul_f32_e32 v15, s57, v5
	v_readlane_b32 s5, v35, 1
	v_readlane_b32 s6, v35, 2
	;; [unrolled: 1-line block ×3, first 2 shown]
                                        ; implicit-def: $vgpr22
	v_fmac_f32_e32 v15, s5, v9
	v_readlane_b32 s4, v35, 4
	v_readlane_b32 s5, v35, 5
	;; [unrolled: 1-line block ×4, first 2 shown]
	v_fmac_f32_e32 v15, s58, v6
	v_fmac_f32_e32 v15, s59, v7
	;; [unrolled: 1-line block ×4, first 2 shown]
	v_add_f32_e32 v20, s5, v15
	v_cmp_ngt_f32_e64 s0, 0x3f200000, |v20|
	s_and_saveexec_b32 s20, s0
	s_xor_b32 s0, exec_lo, s20
	s_cbranch_execz .LBB0_13
; %bb.12:                               ;   in Loop: Header=BB0_3 Depth=1
	v_add_f32_e64 v15, |v20|, |v20|
	v_mul_f32_e32 v16, 0x3fb8aa3b, v15
	v_cmp_ngt_f32_e32 vcc_lo, 0xc2ce8ed0, v15
	v_rndne_f32_e32 v19, v16
	v_fma_f32 v21, 0x3fb8aa3b, v15, -v16
	v_sub_f32_e32 v16, v16, v19
	v_fmac_f32_e32 v21, 0x32a5705f, v15
	v_cvt_i32_f32_e32 v19, v19
	v_add_f32_e32 v16, v16, v21
	v_exp_f32_e32 v16, v16
	v_ldexp_f32 v16, v16, v19
	v_cndmask_b32_e32 v16, 0, v16, vcc_lo
	v_cmp_nlt_f32_e32 vcc_lo, 0x42b17218, v15
	v_cndmask_b32_e32 v15, 0x7f800000, v16, vcc_lo
	v_add_f32_e32 v15, 1.0, v15
	v_rcp_f32_e32 v15, v15
	v_fma_f32 v22, v15, -2.0, 1.0
.LBB0_13:                               ;   in Loop: Header=BB0_3 Depth=1
	s_andn2_saveexec_b32 s0, s0
	s_cbranch_execz .LBB0_15
; %bb.14:                               ;   in Loop: Header=BB0_3 Depth=1
	v_mul_f32_e32 v15, v20, v20
	v_fmaak_f32 v16, s23, v15, 0x3ca908c9
	v_fmaak_f32 v16, v15, v16, 0xbd5c1c4e
	v_fmaak_f32 v16, v15, v16, 0x3e088382
	v_fmaak_f32 v16, v15, v16, 0xbeaaaa99
	v_mul_f32_e64 v16, |v20|, v16
	v_fma_f32 v22, v15, v16, |v20|
.LBB0_15:                               ;   in Loop: Header=BB0_3 Depth=1
	s_or_b32 exec_lo, exec_lo, s0
	v_readlane_b32 s4, v35, 0
	v_mul_f32_e32 v15, s62, v5
	v_readlane_b32 s6, v35, 2
	v_readlane_b32 s5, v35, 1
	;; [unrolled: 1-line block ×3, first 2 shown]
                                        ; implicit-def: $vgpr21
	v_fmac_f32_e32 v15, s6, v9
	v_readlane_b32 s4, v35, 4
	v_readlane_b32 s6, v35, 6
	;; [unrolled: 1-line block ×4, first 2 shown]
	v_fmac_f32_e32 v15, s63, v6
	v_fmac_f32_e32 v15, s64, v7
	;; [unrolled: 1-line block ×4, first 2 shown]
	v_add_f32_e32 v19, s6, v15
	v_cmp_ngt_f32_e64 s0, 0x3f200000, |v19|
	s_and_saveexec_b32 s20, s0
	s_xor_b32 s0, exec_lo, s20
	s_cbranch_execz .LBB0_17
; %bb.16:                               ;   in Loop: Header=BB0_3 Depth=1
	v_add_f32_e64 v15, |v19|, |v19|
	v_mul_f32_e32 v16, 0x3fb8aa3b, v15
	v_cmp_ngt_f32_e32 vcc_lo, 0xc2ce8ed0, v15
	v_rndne_f32_e32 v21, v16
	v_fma_f32 v25, 0x3fb8aa3b, v15, -v16
	v_sub_f32_e32 v16, v16, v21
	v_fmac_f32_e32 v25, 0x32a5705f, v15
	v_cvt_i32_f32_e32 v21, v21
	v_add_f32_e32 v16, v16, v25
	v_exp_f32_e32 v16, v16
	v_ldexp_f32 v16, v16, v21
	v_cndmask_b32_e32 v16, 0, v16, vcc_lo
	v_cmp_nlt_f32_e32 vcc_lo, 0x42b17218, v15
	v_cndmask_b32_e32 v15, 0x7f800000, v16, vcc_lo
	v_add_f32_e32 v15, 1.0, v15
	v_rcp_f32_e32 v15, v15
	v_fma_f32 v21, v15, -2.0, 1.0
.LBB0_17:                               ;   in Loop: Header=BB0_3 Depth=1
	s_andn2_saveexec_b32 s0, s0
	s_cbranch_execz .LBB0_19
; %bb.18:                               ;   in Loop: Header=BB0_3 Depth=1
	v_mul_f32_e32 v15, v19, v19
	v_fmaak_f32 v16, s23, v15, 0x3ca908c9
	v_fmaak_f32 v16, v15, v16, 0xbd5c1c4e
	;; [unrolled: 1-line block ×4, first 2 shown]
	v_mul_f32_e64 v16, |v19|, v16
	v_fma_f32 v21, v15, v16, |v19|
.LBB0_19:                               ;   in Loop: Header=BB0_3 Depth=1
	s_or_b32 exec_lo, exec_lo, s0
	v_readlane_b32 s4, v35, 0
	v_mul_f32_e32 v15, s67, v5
	v_readlane_b32 s7, v35, 3
	v_readlane_b32 s5, v35, 1
	;; [unrolled: 1-line block ×3, first 2 shown]
                                        ; implicit-def: $vgpr16
	v_fmac_f32_e32 v15, s7, v9
	v_readlane_b32 s4, v35, 4
	v_readlane_b32 s7, v35, 7
	;; [unrolled: 1-line block ×4, first 2 shown]
	v_fmac_f32_e32 v15, s28, v6
	v_fmac_f32_e32 v15, s29, v7
	;; [unrolled: 1-line block ×4, first 2 shown]
	v_add_f32_e32 v15, s7, v15
	v_cmp_ngt_f32_e64 s0, 0x3f200000, |v15|
	s_and_saveexec_b32 s20, s0
	s_xor_b32 s0, exec_lo, s20
	s_cbranch_execz .LBB0_21
; %bb.20:                               ;   in Loop: Header=BB0_3 Depth=1
	v_add_f32_e64 v16, |v15|, |v15|
	v_mul_f32_e32 v25, 0x3fb8aa3b, v16
	v_cmp_ngt_f32_e32 vcc_lo, 0xc2ce8ed0, v16
	v_rndne_f32_e32 v26, v25
	v_fma_f32 v27, 0x3fb8aa3b, v16, -v25
	v_sub_f32_e32 v25, v25, v26
	v_fmac_f32_e32 v27, 0x32a5705f, v16
	v_cvt_i32_f32_e32 v26, v26
	v_add_f32_e32 v25, v25, v27
	v_exp_f32_e32 v25, v25
	v_ldexp_f32 v25, v25, v26
	v_cndmask_b32_e32 v25, 0, v25, vcc_lo
	v_cmp_nlt_f32_e32 vcc_lo, 0x42b17218, v16
	v_cndmask_b32_e32 v16, 0x7f800000, v25, vcc_lo
	v_add_f32_e32 v16, 1.0, v16
	v_rcp_f32_e32 v16, v16
	v_fma_f32 v16, v16, -2.0, 1.0
.LBB0_21:                               ;   in Loop: Header=BB0_3 Depth=1
	s_andn2_saveexec_b32 s0, s0
	s_cbranch_execz .LBB0_23
; %bb.22:                               ;   in Loop: Header=BB0_3 Depth=1
	v_mul_f32_e32 v16, v15, v15
	v_fmaak_f32 v25, s23, v16, 0x3ca908c9
	v_fmaak_f32 v25, v16, v25, 0xbd5c1c4e
	;; [unrolled: 1-line block ×4, first 2 shown]
	v_mul_f32_e64 v25, |v15|, v25
	v_fma_f32 v16, v16, v25, |v15|
.LBB0_23:                               ;   in Loop: Header=BB0_3 Depth=1
	s_or_b32 exec_lo, exec_lo, s0
	v_readlane_b32 s84, v36, 0
	v_readlane_b32 s68, v34, 8
	;; [unrolled: 1-line block ×5, first 2 shown]
	v_mul_f32_e32 v25, s84, v5
	v_readlane_b32 s88, v36, 4
	v_readlane_b32 s89, v36, 5
	v_readlane_b32 s90, v36, 6
	v_readlane_b32 s91, v36, 7
	v_fmac_f32_e32 v25, s68, v9
	v_readlane_b32 s76, v34, 16
	v_readlane_b32 s77, v34, 17
	v_readlane_b32 s78, v34, 18
	v_readlane_b32 s79, v34, 19
	v_fmac_f32_e32 v25, s85, v6
	;; [unrolled: 5-line block ×4, first 2 shown]
	v_readlane_b32 s15, v36, 27
	v_readlane_b32 s16, v36, 28
	;; [unrolled: 1-line block ×3, first 2 shown]
	v_bfi_b32 v11, 0x7fffffff, v24, v11
	v_fmac_f32_e32 v25, s88, v4
	v_readlane_b32 s76, v34, 24
	v_readlane_b32 s81, v34, 29
	;; [unrolled: 1-line block ×5, first 2 shown]
	v_add_f32_e32 v25, s76, v25
	v_readlane_b32 s95, v36, 11
	v_readlane_b32 s96, v36, 12
	;; [unrolled: 1-line block ×4, first 2 shown]
	v_mul_f32_e32 v26, 0xbfb8aa3b, v25
	v_cmp_nlt_f32_e32 vcc_lo, 0x42ce8ed0, v25
	v_cmp_ngt_f32_e64 s0, 0xc2b17218, v25
	v_readlane_b32 s99, v36, 15
	v_readlane_b32 s69, v34, 9
	v_fma_f32 v27, 0xbfb8aa3b, v25, -v26
	v_rndne_f32_e32 v28, v26
	v_readlane_b32 s70, v34, 10
	v_readlane_b32 s71, v34, 11
	;; [unrolled: 1-line block ×3, first 2 shown]
	v_fmac_f32_e32 v27, 0xb2a5705f, v25
	v_sub_f32_e32 v26, v26, v28
	v_readlane_b32 s74, v34, 14
	v_readlane_b32 s75, v34, 15
	;; [unrolled: 1-line block ×4, first 2 shown]
	v_add_f32_e32 v26, v26, v27
	v_cvt_i32_f32_e32 v27, v28
	v_readlane_b32 s79, v34, 27
	v_readlane_b32 s80, v34, 28
	;; [unrolled: 1-line block ×3, first 2 shown]
	v_exp_f32_e32 v26, v26
	v_readlane_b32 s83, v34, 31
	v_readlane_b32 s84, v33, 0
	;; [unrolled: 1-line block ×9, first 2 shown]
	v_ldexp_f32 v26, v26, v27
	v_readlane_b32 s5, v36, 17
	v_readlane_b32 s6, v36, 18
	;; [unrolled: 1-line block ×4, first 2 shown]
	v_cndmask_b32_e32 v25, 0, v26, vcc_lo
	v_readlane_b32 s9, v36, 21
	v_readlane_b32 s10, v36, 22
	;; [unrolled: 1-line block ×4, first 2 shown]
	v_cndmask_b32_e64 v25, 0x7f800000, v25, s0
	v_readlane_b32 s18, v36, 30
	v_readlane_b32 s19, v36, 31
	v_add_f32_e32 v25, 1.0, v25
	v_div_scale_f32 v26, null, v25, v25, 1.0
	v_rcp_f32_e32 v27, v26
	v_fma_f32 v28, -v26, v27, 1.0
	v_fmac_f32_e32 v27, v28, v27
	v_div_scale_f32 v28, vcc_lo, 1.0, v25, 1.0
	v_mul_f32_e32 v29, v28, v27
	v_fma_f32 v30, -v26, v29, v28
	v_fmac_f32_e32 v29, v30, v27
	v_fma_f32 v26, -v26, v29, v28
	v_div_fmas_f32 v26, v26, v27, v29
	v_mul_f32_e32 v27, s13, v5
	v_div_fixup_f32 v24, v26, v25, 1.0
	v_fmac_f32_e32 v27, s73, v9
	v_mul_f32_e32 v11, v11, v24
	v_fmac_f32_e32 v27, s14, v6
	v_fmac_f32_e32 v27, s15, v7
	;; [unrolled: 1-line block ×4, first 2 shown]
	v_add_f32_e32 v27, s81, v27
	v_mul_f32_e32 v28, 0xbfb8aa3b, v27
	v_cmp_nlt_f32_e32 vcc_lo, 0x42ce8ed0, v27
	v_cmp_ngt_f32_e64 s0, 0xc2b17218, v27
	v_fma_f32 v29, 0xbfb8aa3b, v27, -v28
	v_rndne_f32_e32 v30, v28
	v_fmac_f32_e32 v29, 0xb2a5705f, v27
	v_sub_f32_e32 v28, v28, v30
	v_add_f32_e32 v28, v28, v29
	v_cvt_i32_f32_e32 v29, v30
	v_exp_f32_e32 v28, v28
	v_ldexp_f32 v28, v28, v29
	v_cndmask_b32_e32 v27, 0, v28, vcc_lo
	v_cndmask_b32_e64 v27, 0x7f800000, v27, s0
	v_add_f32_e32 v27, 1.0, v27
	v_div_scale_f32 v28, null, v27, v27, 1.0
	v_rcp_f32_e32 v29, v28
	v_fma_f32 v30, -v28, v29, 1.0
	v_fmac_f32_e32 v29, v30, v29
	v_div_scale_f32 v30, vcc_lo, 1.0, v27, 1.0
	v_mul_f32_e32 v31, v30, v29
	v_fma_f32 v32, -v28, v31, v30
	v_fmac_f32_e32 v31, v32, v29
	v_fma_f32 v28, -v28, v31, v30
	v_div_fmas_f32 v28, v28, v29, v31
	v_div_fixup_f32 v25, v28, v27, 1.0
	v_fmac_f32_e32 v11, v12, v25
                                        ; implicit-def: $vgpr12
	v_cmp_ngt_f32_e64 s0, 0x3f200000, |v11|
	s_and_saveexec_b32 s20, s0
	s_xor_b32 s0, exec_lo, s20
	s_cbranch_execz .LBB0_25
; %bb.24:                               ;   in Loop: Header=BB0_3 Depth=1
	v_add_f32_e64 v12, |v11|, |v11|
	v_mul_f32_e32 v24, 0x3fb8aa3b, v12
	v_cmp_ngt_f32_e32 vcc_lo, 0xc2ce8ed0, v12
	v_rndne_f32_e32 v25, v24
	v_fma_f32 v26, 0x3fb8aa3b, v12, -v24
	v_sub_f32_e32 v24, v24, v25
	v_fmac_f32_e32 v26, 0x32a5705f, v12
	v_cvt_i32_f32_e32 v25, v25
	v_add_f32_e32 v24, v24, v26
	v_exp_f32_e32 v24, v24
	v_ldexp_f32 v24, v24, v25
	v_cndmask_b32_e32 v24, 0, v24, vcc_lo
	v_cmp_nlt_f32_e32 vcc_lo, 0x42b17218, v12
	v_cndmask_b32_e32 v12, 0x7f800000, v24, vcc_lo
	v_add_f32_e32 v12, 1.0, v12
	v_rcp_f32_e32 v12, v12
	v_fma_f32 v12, v12, -2.0, 1.0
.LBB0_25:                               ;   in Loop: Header=BB0_3 Depth=1
	s_andn2_saveexec_b32 s0, s0
	s_cbranch_execz .LBB0_27
; %bb.26:                               ;   in Loop: Header=BB0_3 Depth=1
	v_mul_f32_e32 v12, v11, v11
	v_fmaak_f32 v24, s23, v12, 0x3ca908c9
	v_fmaak_f32 v24, v12, v24, 0xbd5c1c4e
	;; [unrolled: 1-line block ×4, first 2 shown]
	v_mul_f32_e64 v24, |v11|, v24
	v_fma_f32 v12, v12, v24, |v11|
.LBB0_27:                               ;   in Loop: Header=BB0_3 Depth=1
	s_or_b32 exec_lo, exec_lo, s0
	v_readlane_b32 s80, v36, 0
	v_readlane_b32 s85, v36, 5
	;; [unrolled: 1-line block ×6, first 2 shown]
	v_mul_f32_e32 v24, s85, v5
	v_readlane_b32 s69, v34, 9
	v_readlane_b32 s86, v36, 6
	;; [unrolled: 1-line block ×5, first 2 shown]
	v_fmac_f32_e32 v24, s69, v9
	v_readlane_b32 s84, v36, 4
	v_readlane_b32 s90, v36, 10
	v_readlane_b32 s91, v36, 11
	v_readlane_b32 s76, v34, 16
	v_fmac_f32_e32 v24, s86, v6
	v_readlane_b32 s77, v34, 17
	v_readlane_b32 s78, v34, 18
	v_readlane_b32 s79, v34, 19
	v_readlane_b32 s80, v34, 20
	v_fmac_f32_e32 v24, s87, v7
	v_readlane_b32 s81, v34, 21
	v_readlane_b32 s82, v34, 22
	v_readlane_b32 s83, v34, 23
	v_readlane_b32 s4, v36, 16
	v_fmac_f32_e32 v24, s88, v8
	v_readlane_b32 s18, v36, 30
	v_readlane_b32 s74, v34, 14
	v_readlane_b32 s19, v36, 31
	v_readlane_b32 s5, v36, 17
	v_fmac_f32_e32 v24, s89, v4
	v_readlane_b32 s76, v34, 24
	v_readlane_b32 s77, v34, 25
	v_readlane_b32 s6, v36, 18
	v_readlane_b32 s7, v36, 19
	v_readlane_b32 s8, v36, 20
	v_readlane_b32 s9, v36, 21
	v_add_f32_e32 v24, s77, v24
	v_readlane_b32 s10, v36, 22
	v_readlane_b32 s11, v36, 23
	v_readlane_b32 s12, v36, 24
	v_readlane_b32 s13, v36, 25
	v_mul_f32_e32 v25, 0xbfb8aa3b, v24
	v_cmp_nlt_f32_e32 vcc_lo, 0x42ce8ed0, v24
	v_cmp_ngt_f32_e64 s0, 0xc2b17218, v24
	v_readlane_b32 s14, v36, 26
	v_readlane_b32 s15, v36, 27
	v_fma_f32 v26, 0xbfb8aa3b, v24, -v25
	v_rndne_f32_e32 v27, v25
	v_readlane_b32 s16, v36, 28
	v_readlane_b32 s17, v36, 29
	;; [unrolled: 1-line block ×3, first 2 shown]
	v_fmac_f32_e32 v26, 0xb2a5705f, v24
	v_sub_f32_e32 v25, v25, v27
	v_bfi_b32 v14, 0x7fffffff, v23, v14
	v_readlane_b32 s92, v36, 12
	v_readlane_b32 s93, v36, 13
	;; [unrolled: 1-line block ×3, first 2 shown]
	v_add_f32_e32 v25, v25, v26
	v_cvt_i32_f32_e32 v26, v27
	v_readlane_b32 s95, v36, 15
	v_readlane_b32 s70, v34, 10
	;; [unrolled: 1-line block ×3, first 2 shown]
	v_exp_f32_e32 v25, v25
	v_readlane_b32 s72, v34, 12
	v_readlane_b32 s73, v34, 13
	;; [unrolled: 1-line block ×9, first 2 shown]
	v_ldexp_f32 v25, v25, v26
	v_readlane_b32 s85, v33, 1
	v_readlane_b32 s86, v33, 2
	;; [unrolled: 1-line block ×4, first 2 shown]
	v_cndmask_b32_e32 v24, 0, v25, vcc_lo
	v_readlane_b32 s89, v33, 5
	v_readlane_b32 s90, v33, 6
	;; [unrolled: 1-line block ×3, first 2 shown]
	v_cndmask_b32_e64 v24, 0x7f800000, v24, s0
	v_add_f32_e32 v24, 1.0, v24
	v_div_scale_f32 v25, null, v24, v24, 1.0
	v_rcp_f32_e32 v26, v25
	v_fma_f32 v27, -v25, v26, 1.0
	v_fmac_f32_e32 v26, v27, v26
	v_div_scale_f32 v27, vcc_lo, 1.0, v24, 1.0
	v_mul_f32_e32 v28, v27, v26
	v_fma_f32 v29, -v25, v28, v27
	v_fmac_f32_e32 v28, v29, v26
	v_fma_f32 v25, -v25, v28, v27
	v_div_fmas_f32 v25, v25, v26, v28
	v_mul_f32_e32 v26, s18, v5
	v_div_fixup_f32 v23, v25, v24, 1.0
	v_fmac_f32_e32 v26, s74, v9
	v_mul_f32_e32 v14, v14, v23
	v_fmac_f32_e32 v26, s19, v6
	v_readlane_b32 s4, v35, 8
	v_readlane_b32 s5, v35, 9
	;; [unrolled: 1-line block ×5, first 2 shown]
	v_fmac_f32_e32 v26, s4, v7
	v_readlane_b32 s9, v35, 13
	v_readlane_b32 s10, v35, 14
	;; [unrolled: 1-line block ×4, first 2 shown]
	v_fmac_f32_e32 v26, s5, v8
	v_readlane_b32 s13, v35, 17
	v_readlane_b32 s14, v35, 18
	;; [unrolled: 1-line block ×4, first 2 shown]
	v_fmac_f32_e32 v26, s6, v4
	v_readlane_b32 s17, v35, 21
	v_readlane_b32 s18, v35, 22
	;; [unrolled: 1-line block ×3, first 2 shown]
	v_add_f32_e32 v26, s82, v26
	v_mul_f32_e32 v27, 0xbfb8aa3b, v26
	v_cmp_nlt_f32_e32 vcc_lo, 0x42ce8ed0, v26
	v_cmp_ngt_f32_e64 s0, 0xc2b17218, v26
	v_fma_f32 v28, 0xbfb8aa3b, v26, -v27
	v_rndne_f32_e32 v29, v27
	v_fmac_f32_e32 v28, 0xb2a5705f, v26
	v_sub_f32_e32 v27, v27, v29
	v_add_f32_e32 v27, v27, v28
	v_cvt_i32_f32_e32 v28, v29
	v_exp_f32_e32 v27, v27
	v_ldexp_f32 v27, v27, v28
	v_cndmask_b32_e32 v26, 0, v27, vcc_lo
	v_cndmask_b32_e64 v26, 0x7f800000, v26, s0
	v_add_f32_e32 v26, 1.0, v26
	v_div_scale_f32 v27, null, v26, v26, 1.0
	v_rcp_f32_e32 v28, v27
	v_fma_f32 v29, -v27, v28, 1.0
	v_fmac_f32_e32 v28, v29, v28
	v_div_scale_f32 v29, vcc_lo, 1.0, v26, 1.0
	v_mul_f32_e32 v30, v29, v28
	v_fma_f32 v31, -v27, v30, v29
	v_fmac_f32_e32 v30, v31, v28
	v_fma_f32 v27, -v27, v30, v29
	v_div_fmas_f32 v27, v27, v28, v30
	v_div_fixup_f32 v24, v27, v26, 1.0
	v_fmac_f32_e32 v14, v17, v24
                                        ; implicit-def: $vgpr17
	v_cmp_ngt_f32_e64 s0, 0x3f200000, |v14|
	s_and_saveexec_b32 s20, s0
	s_xor_b32 s0, exec_lo, s20
	s_cbranch_execz .LBB0_29
; %bb.28:                               ;   in Loop: Header=BB0_3 Depth=1
	v_add_f32_e64 v17, |v14|, |v14|
	v_mul_f32_e32 v23, 0x3fb8aa3b, v17
	v_cmp_ngt_f32_e32 vcc_lo, 0xc2ce8ed0, v17
	v_rndne_f32_e32 v24, v23
	v_fma_f32 v25, 0x3fb8aa3b, v17, -v23
	v_sub_f32_e32 v23, v23, v24
	v_fmac_f32_e32 v25, 0x32a5705f, v17
	v_cvt_i32_f32_e32 v24, v24
	v_add_f32_e32 v23, v23, v25
	v_exp_f32_e32 v23, v23
	v_ldexp_f32 v23, v23, v24
	v_cndmask_b32_e32 v23, 0, v23, vcc_lo
	v_cmp_nlt_f32_e32 vcc_lo, 0x42b17218, v17
	v_cndmask_b32_e32 v17, 0x7f800000, v23, vcc_lo
	v_add_f32_e32 v17, 1.0, v17
	v_rcp_f32_e32 v17, v17
	v_fma_f32 v17, v17, -2.0, 1.0
.LBB0_29:                               ;   in Loop: Header=BB0_3 Depth=1
	s_andn2_saveexec_b32 s0, s0
	s_cbranch_execz .LBB0_31
; %bb.30:                               ;   in Loop: Header=BB0_3 Depth=1
	v_mul_f32_e32 v17, v14, v14
	v_fmaak_f32 v23, s23, v17, 0x3ca908c9
	v_fmaak_f32 v23, v17, v23, 0xbd5c1c4e
	;; [unrolled: 1-line block ×4, first 2 shown]
	v_mul_f32_e64 v23, |v14|, v23
	v_fma_f32 v17, v17, v23, |v14|
.LBB0_31:                               ;   in Loop: Header=BB0_3 Depth=1
	s_or_b32 exec_lo, exec_lo, s0
	v_readlane_b32 s76, v36, 0
	v_readlane_b32 s86, v36, 10
	;; [unrolled: 1-line block ×10, first 2 shown]
	v_mul_f32_e32 v23, s86, v5
	v_readlane_b32 s70, v34, 10
	v_readlane_b32 s87, v36, 11
	;; [unrolled: 1-line block ×5, first 2 shown]
	v_fmac_f32_e32 v23, s70, v9
	v_readlane_b32 s84, v36, 8
	v_readlane_b32 s85, v36, 9
	;; [unrolled: 1-line block ×4, first 2 shown]
	v_fmac_f32_e32 v23, s87, v6
	v_readlane_b32 s7, v35, 11
	v_readlane_b32 s75, v34, 15
	;; [unrolled: 1-line block ×4, first 2 shown]
	v_fmac_f32_e32 v23, s88, v7
	v_readlane_b32 s10, v35, 14
	v_readlane_b32 s11, v35, 15
	v_bfi_b32 v20, 0x7fffffff, v22, v20
	v_readlane_b32 s69, v34, 9
	v_fmac_f32_e32 v23, s89, v8
	v_readlane_b32 s71, v34, 11
	v_readlane_b32 s72, v34, 12
	;; [unrolled: 1-line block ×4, first 2 shown]
	v_fmac_f32_e32 v23, s90, v4
	v_readlane_b32 s84, v34, 24
	v_readlane_b32 s86, v34, 26
	;; [unrolled: 1-line block ×6, first 2 shown]
	v_add_f32_e32 v23, s86, v23
	v_readlane_b32 s93, v33, 1
	v_readlane_b32 s94, v33, 2
	;; [unrolled: 1-line block ×4, first 2 shown]
	v_mul_f32_e32 v24, 0xbfb8aa3b, v23
	v_cmp_nlt_f32_e32 vcc_lo, 0x42ce8ed0, v23
	v_cmp_ngt_f32_e64 s0, 0xc2b17218, v23
	v_readlane_b32 s97, v33, 5
	v_readlane_b32 s98, v33, 6
	v_fma_f32 v25, 0xbfb8aa3b, v23, -v24
	v_rndne_f32_e32 v26, v24
	v_readlane_b32 s99, v33, 7
	v_readlane_b32 s76, v34, 16
	;; [unrolled: 1-line block ×3, first 2 shown]
	v_fmac_f32_e32 v25, 0xb2a5705f, v23
	v_sub_f32_e32 v24, v24, v26
	v_readlane_b32 s78, v34, 18
	v_readlane_b32 s79, v34, 19
	v_readlane_b32 s80, v34, 20
	v_readlane_b32 s81, v34, 21
	v_add_f32_e32 v24, v24, v25
	v_cvt_i32_f32_e32 v25, v26
	v_readlane_b32 s82, v34, 22
	v_readlane_b32 s83, v34, 23
	;; [unrolled: 1-line block ×3, first 2 shown]
	v_exp_f32_e32 v24, v24
	v_readlane_b32 s89, v34, 29
	v_readlane_b32 s90, v34, 30
	;; [unrolled: 1-line block ×9, first 2 shown]
	v_ldexp_f32 v24, v24, v25
	v_readlane_b32 s17, v35, 21
	v_readlane_b32 s18, v35, 22
	;; [unrolled: 1-line block ×3, first 2 shown]
	v_cndmask_b32_e32 v23, 0, v24, vcc_lo
	v_cndmask_b32_e64 v23, 0x7f800000, v23, s0
	v_add_f32_e32 v23, 1.0, v23
	v_div_scale_f32 v24, null, v23, v23, 1.0
	v_rcp_f32_e32 v25, v24
	v_fma_f32 v26, -v24, v25, 1.0
	v_fmac_f32_e32 v25, v26, v25
	v_div_scale_f32 v26, vcc_lo, 1.0, v23, 1.0
	v_mul_f32_e32 v27, v26, v25
	v_fma_f32 v28, -v24, v27, v26
	v_fmac_f32_e32 v27, v28, v25
	v_fma_f32 v24, -v24, v27, v26
	v_div_fmas_f32 v24, v24, v25, v27
	v_mul_f32_e32 v25, s7, v5
	v_div_fixup_f32 v22, v24, v23, 1.0
	v_fmac_f32_e32 v25, s75, v9
	v_mul_f32_e32 v20, v20, v22
	v_fmac_f32_e32 v25, s8, v6
	v_fmac_f32_e32 v25, s9, v7
	;; [unrolled: 1-line block ×4, first 2 shown]
	v_add_f32_e32 v25, s91, v25
	v_mul_f32_e32 v26, 0xbfb8aa3b, v25
	v_cmp_nlt_f32_e32 vcc_lo, 0x42ce8ed0, v25
	v_cmp_ngt_f32_e64 s0, 0xc2b17218, v25
	v_fma_f32 v27, 0xbfb8aa3b, v25, -v26
	v_rndne_f32_e32 v28, v26
	v_fmac_f32_e32 v27, 0xb2a5705f, v25
	v_sub_f32_e32 v26, v26, v28
	v_add_f32_e32 v26, v26, v27
	v_cvt_i32_f32_e32 v27, v28
	v_exp_f32_e32 v26, v26
	v_ldexp_f32 v26, v26, v27
	v_cndmask_b32_e32 v25, 0, v26, vcc_lo
	v_cndmask_b32_e64 v25, 0x7f800000, v25, s0
	v_add_f32_e32 v25, 1.0, v25
	v_div_scale_f32 v26, null, v25, v25, 1.0
	v_rcp_f32_e32 v27, v26
	v_fma_f32 v28, -v26, v27, 1.0
	v_fmac_f32_e32 v27, v28, v27
	v_div_scale_f32 v28, vcc_lo, 1.0, v25, 1.0
	v_mul_f32_e32 v29, v28, v27
	v_fma_f32 v30, -v26, v29, v28
	v_fmac_f32_e32 v29, v30, v27
	v_fma_f32 v26, -v26, v29, v28
	v_div_fmas_f32 v26, v26, v27, v29
	v_div_fixup_f32 v23, v26, v25, 1.0
	v_fmac_f32_e32 v20, v18, v23
                                        ; implicit-def: $vgpr18
	v_cmp_ngt_f32_e64 s0, 0x3f200000, |v20|
	s_and_saveexec_b32 s20, s0
	s_xor_b32 s0, exec_lo, s20
	s_cbranch_execz .LBB0_33
; %bb.32:                               ;   in Loop: Header=BB0_3 Depth=1
	v_add_f32_e64 v18, |v20|, |v20|
	v_mul_f32_e32 v22, 0x3fb8aa3b, v18
	v_cmp_ngt_f32_e32 vcc_lo, 0xc2ce8ed0, v18
	v_rndne_f32_e32 v23, v22
	v_fma_f32 v24, 0x3fb8aa3b, v18, -v22
	v_sub_f32_e32 v22, v22, v23
	v_fmac_f32_e32 v24, 0x32a5705f, v18
	v_cvt_i32_f32_e32 v23, v23
	v_add_f32_e32 v22, v22, v24
	v_exp_f32_e32 v22, v22
	v_ldexp_f32 v22, v22, v23
	v_cndmask_b32_e32 v22, 0, v22, vcc_lo
	v_cmp_nlt_f32_e32 vcc_lo, 0x42b17218, v18
	v_cndmask_b32_e32 v18, 0x7f800000, v22, vcc_lo
	v_add_f32_e32 v18, 1.0, v18
	v_rcp_f32_e32 v18, v18
	v_fma_f32 v18, v18, -2.0, 1.0
.LBB0_33:                               ;   in Loop: Header=BB0_3 Depth=1
	s_andn2_saveexec_b32 s0, s0
	s_cbranch_execz .LBB0_35
; %bb.34:                               ;   in Loop: Header=BB0_3 Depth=1
	v_mul_f32_e32 v18, v20, v20
	v_fmaak_f32 v22, s23, v18, 0x3ca908c9
	v_fmaak_f32 v22, v18, v22, 0xbd5c1c4e
	;; [unrolled: 1-line block ×4, first 2 shown]
	v_mul_f32_e64 v22, |v20|, v22
	v_fma_f32 v18, v18, v22, |v20|
.LBB0_35:                               ;   in Loop: Header=BB0_3 Depth=1
	s_or_b32 exec_lo, exec_lo, s0
	v_readlane_b32 s68, v36, 0
	v_readlane_b32 s83, v36, 15
	;; [unrolled: 1-line block ×16, first 2 shown]
	v_mul_f32_e32 v22, s83, v5
	v_readlane_b32 s68, v34, 8
	v_readlane_b32 s71, v34, 11
	;; [unrolled: 1-line block ×6, first 2 shown]
	v_fmac_f32_e32 v22, s71, v9
	v_readlane_b32 s8, v36, 20
	v_readlane_b32 s9, v36, 21
	v_readlane_b32 s10, v36, 22
	v_readlane_b32 s11, v36, 23
	v_fmac_f32_e32 v22, s4, v6
	v_readlane_b32 s12, v36, 24
	v_readlane_b32 s13, v36, 25
	v_readlane_b32 s14, v36, 26
	v_readlane_b32 s15, v36, 27
	;; [unrolled: 5-line block ×3, first 2 shown]
	v_fmac_f32_e32 v22, s6, v8
	v_readlane_b32 s76, v34, 16
	v_bfi_b32 v19, 0x7fffffff, v21, v19
	v_readlane_b32 s69, v34, 9
	v_readlane_b32 s70, v34, 10
	v_fmac_f32_e32 v22, s7, v4
	v_readlane_b32 s4, v35, 8
	v_readlane_b32 s12, v35, 16
	;; [unrolled: 1-line block ×4, first 2 shown]
	v_add_f32_e32 v22, s87, v22
	v_readlane_b32 s15, v35, 19
	v_readlane_b32 s16, v35, 20
	;; [unrolled: 1-line block ×4, first 2 shown]
	v_mul_f32_e32 v23, 0xbfb8aa3b, v22
	v_cmp_nlt_f32_e32 vcc_lo, 0x42ce8ed0, v22
	v_cmp_ngt_f32_e64 s0, 0xc2b17218, v22
	v_readlane_b32 s74, v34, 14
	v_readlane_b32 s75, v34, 15
	v_fma_f32 v24, 0xbfb8aa3b, v22, -v23
	v_rndne_f32_e32 v25, v23
	v_readlane_b32 s77, v34, 17
	v_readlane_b32 s78, v34, 18
	;; [unrolled: 1-line block ×3, first 2 shown]
	v_fmac_f32_e32 v24, 0xb2a5705f, v22
	v_sub_f32_e32 v23, v23, v25
	v_readlane_b32 s80, v34, 20
	v_readlane_b32 s81, v34, 21
	;; [unrolled: 1-line block ×4, first 2 shown]
	v_add_f32_e32 v23, v23, v24
	v_cvt_i32_f32_e32 v24, v25
	v_readlane_b32 s5, v35, 9
	v_readlane_b32 s6, v35, 10
	;; [unrolled: 1-line block ×3, first 2 shown]
	v_exp_f32_e32 v23, v23
	v_readlane_b32 s8, v35, 12
	v_readlane_b32 s9, v35, 13
	v_readlane_b32 s10, v35, 14
	v_readlane_b32 s11, v35, 15
	v_readlane_b32 s17, v35, 21
	v_readlane_b32 s18, v35, 22
	v_readlane_b32 s19, v35, 23
	v_ldexp_f32 v23, v23, v24
	v_cndmask_b32_e32 v22, 0, v23, vcc_lo
	v_cndmask_b32_e64 v22, 0x7f800000, v22, s0
	v_add_f32_e32 v22, 1.0, v22
	v_div_scale_f32 v23, null, v22, v22, 1.0
	v_rcp_f32_e32 v24, v23
	v_fma_f32 v25, -v23, v24, 1.0
	v_fmac_f32_e32 v24, v25, v24
	v_div_scale_f32 v25, vcc_lo, 1.0, v22, 1.0
	v_mul_f32_e32 v26, v25, v24
	v_fma_f32 v27, -v23, v26, v25
	v_fmac_f32_e32 v26, v27, v24
	v_fma_f32 v23, -v23, v26, v25
	v_div_fmas_f32 v23, v23, v24, v26
	v_mul_f32_e32 v24, s12, v5
	v_div_fixup_f32 v21, v23, v22, 1.0
	v_fmac_f32_e32 v24, s76, v9
	v_mul_f32_e32 v19, v19, v21
	v_fmac_f32_e32 v24, s13, v6
	v_fmac_f32_e32 v24, s14, v7
	;; [unrolled: 1-line block ×4, first 2 shown]
	v_add_f32_e32 v24, s92, v24
	v_mul_f32_e32 v25, 0xbfb8aa3b, v24
	v_cmp_nlt_f32_e32 vcc_lo, 0x42ce8ed0, v24
	v_cmp_ngt_f32_e64 s0, 0xc2b17218, v24
	v_fma_f32 v26, 0xbfb8aa3b, v24, -v25
	v_rndne_f32_e32 v27, v25
	v_fmac_f32_e32 v26, 0xb2a5705f, v24
	v_sub_f32_e32 v25, v25, v27
	v_add_f32_e32 v25, v25, v26
	v_cvt_i32_f32_e32 v26, v27
	v_exp_f32_e32 v25, v25
	v_ldexp_f32 v25, v25, v26
	v_cndmask_b32_e32 v24, 0, v25, vcc_lo
	v_cndmask_b32_e64 v24, 0x7f800000, v24, s0
	v_add_f32_e32 v24, 1.0, v24
	v_div_scale_f32 v25, null, v24, v24, 1.0
	v_rcp_f32_e32 v26, v25
	v_fma_f32 v27, -v25, v26, 1.0
	v_fmac_f32_e32 v26, v27, v26
	v_div_scale_f32 v27, vcc_lo, 1.0, v24, 1.0
	v_mul_f32_e32 v28, v27, v26
	v_fma_f32 v29, -v25, v28, v27
	v_fmac_f32_e32 v28, v29, v26
	v_fma_f32 v25, -v25, v28, v27
	v_div_fmas_f32 v25, v25, v26, v28
	v_div_fixup_f32 v22, v25, v24, 1.0
	v_fmac_f32_e32 v19, v13, v22
                                        ; implicit-def: $vgpr13
	v_cmp_ngt_f32_e64 s0, 0x3f200000, |v19|
	s_and_saveexec_b32 s20, s0
	s_xor_b32 s0, exec_lo, s20
	s_cbranch_execz .LBB0_37
; %bb.36:                               ;   in Loop: Header=BB0_3 Depth=1
	v_add_f32_e64 v13, |v19|, |v19|
	v_mul_f32_e32 v21, 0x3fb8aa3b, v13
	v_cmp_ngt_f32_e32 vcc_lo, 0xc2ce8ed0, v13
	v_rndne_f32_e32 v22, v21
	v_fma_f32 v23, 0x3fb8aa3b, v13, -v21
	v_sub_f32_e32 v21, v21, v22
	v_fmac_f32_e32 v23, 0x32a5705f, v13
	v_cvt_i32_f32_e32 v22, v22
	v_add_f32_e32 v21, v21, v23
	v_exp_f32_e32 v21, v21
	v_ldexp_f32 v21, v21, v22
	v_cndmask_b32_e32 v21, 0, v21, vcc_lo
	v_cmp_nlt_f32_e32 vcc_lo, 0x42b17218, v13
	v_cndmask_b32_e32 v13, 0x7f800000, v21, vcc_lo
	v_add_f32_e32 v13, 1.0, v13
	v_rcp_f32_e32 v13, v13
	v_fma_f32 v13, v13, -2.0, 1.0
.LBB0_37:                               ;   in Loop: Header=BB0_3 Depth=1
	s_andn2_saveexec_b32 s0, s0
	s_cbranch_execz .LBB0_39
; %bb.38:                               ;   in Loop: Header=BB0_3 Depth=1
	v_mul_f32_e32 v13, v19, v19
	v_fmaak_f32 v21, s23, v13, 0x3ca908c9
	v_fmaak_f32 v21, v13, v21, 0xbd5c1c4e
	;; [unrolled: 1-line block ×4, first 2 shown]
	v_mul_f32_e64 v21, |v19|, v21
	v_fma_f32 v13, v13, v21, |v19|
.LBB0_39:                               ;   in Loop: Header=BB0_3 Depth=1
	s_or_b32 exec_lo, exec_lo, s0
	v_readlane_b32 s4, v36, 16
	v_readlane_b32 s8, v36, 20
	v_readlane_b32 s68, v34, 8
	v_readlane_b32 s72, v34, 12
	v_readlane_b32 s9, v36, 21
	v_readlane_b32 s10, v36, 22
	v_mul_f32_e32 v21, s8, v5
	v_readlane_b32 s11, v36, 23
	v_readlane_b32 s12, v36, 24
	v_readlane_b32 s5, v36, 17
	v_readlane_b32 s6, v36, 18
	v_fmac_f32_e32 v21, s72, v9
	v_readlane_b32 s7, v36, 19
	v_readlane_b32 s13, v36, 25
	v_readlane_b32 s14, v36, 26
	v_readlane_b32 s15, v36, 27
	v_fmac_f32_e32 v21, s9, v6
	;; [unrolled: 5-line block ×3, first 2 shown]
	v_readlane_b32 s77, v34, 17
	v_bfi_b32 v15, 0x7fffffff, v16, v15
	v_readlane_b32 s69, v34, 9
	v_readlane_b32 s70, v34, 10
	v_fmac_f32_e32 v21, s11, v8
	v_readlane_b32 s71, v34, 11
	v_readlane_b32 s73, v34, 13
	;; [unrolled: 1-line block ×4, first 2 shown]
	v_fmac_f32_e32 v21, s12, v4
	v_readlane_b32 s4, v35, 8
	v_readlane_b32 s17, v35, 21
	;; [unrolled: 1-line block ×4, first 2 shown]
	v_add_f32_e32 v21, s88, v21
	v_readlane_b32 s5, v35, 9
	v_readlane_b32 s6, v35, 10
	;; [unrolled: 1-line block ×4, first 2 shown]
	v_mul_f32_e32 v22, 0xbfb8aa3b, v21
	v_cmp_nlt_f32_e32 vcc_lo, 0x42ce8ed0, v21
	v_cmp_ngt_f32_e64 s0, 0xc2b17218, v21
	v_readlane_b32 s9, v35, 13
	v_readlane_b32 s10, v35, 14
	v_fma_f32 v23, 0xbfb8aa3b, v21, -v22
	v_rndne_f32_e32 v24, v22
	v_readlane_b32 s11, v35, 15
	v_readlane_b32 s12, v35, 16
	v_readlane_b32 s13, v35, 17
	v_fmac_f32_e32 v23, 0xb2a5705f, v21
	v_sub_f32_e32 v22, v22, v24
	v_readlane_b32 s14, v35, 18
	v_readlane_b32 s15, v35, 19
	;; [unrolled: 1-line block ×4, first 2 shown]
	v_add_f32_e32 v22, v22, v23
	v_cvt_i32_f32_e32 v23, v24
	v_readlane_b32 s78, v34, 18
	v_readlane_b32 s79, v34, 19
	;; [unrolled: 1-line block ×3, first 2 shown]
	v_exp_f32_e32 v22, v22
	v_readlane_b32 s81, v34, 21
	v_readlane_b32 s82, v34, 22
	;; [unrolled: 1-line block ×3, first 2 shown]
	v_ldexp_f32 v22, v22, v23
	v_cndmask_b32_e32 v21, 0, v22, vcc_lo
	v_cndmask_b32_e64 v21, 0x7f800000, v21, s0
	v_add_f32_e32 v21, 1.0, v21
	v_div_scale_f32 v22, null, v21, v21, 1.0
	v_rcp_f32_e32 v23, v22
	v_fma_f32 v24, -v22, v23, 1.0
	v_fmac_f32_e32 v23, v24, v23
	v_div_scale_f32 v24, vcc_lo, 1.0, v21, 1.0
	v_mul_f32_e32 v25, v24, v23
	v_fma_f32 v26, -v22, v25, v24
	v_fmac_f32_e32 v25, v26, v23
	v_fma_f32 v22, -v22, v25, v24
	v_div_fmas_f32 v22, v22, v23, v25
	v_mul_f32_e32 v23, s17, v5
	v_div_fixup_f32 v16, v22, v21, 1.0
	v_fmac_f32_e32 v23, s77, v9
	v_mul_f32_e32 v15, v15, v16
	v_fmac_f32_e32 v23, s18, v6
	v_fmac_f32_e32 v23, s19, v7
	v_readlane_b32 s4, v35, 24
	v_readlane_b32 s5, v35, 25
	;; [unrolled: 1-line block ×5, first 2 shown]
	v_fmac_f32_e32 v23, s4, v8
	v_readlane_b32 s9, v35, 29
	v_readlane_b32 s10, v35, 30
	;; [unrolled: 1-line block ×4, first 2 shown]
	v_fmac_f32_e32 v23, s5, v4
	v_readlane_b32 s13, v34, 1
	v_readlane_b32 s14, v34, 2
	;; [unrolled: 1-line block ×4, first 2 shown]
	v_add_f32_e32 v23, s93, v23
	v_readlane_b32 s17, v34, 5
	v_readlane_b32 s18, v34, 6
	;; [unrolled: 1-line block ×3, first 2 shown]
	v_mul_f32_e32 v24, 0xbfb8aa3b, v23
	v_cmp_nlt_f32_e32 vcc_lo, 0x42ce8ed0, v23
	v_cmp_ngt_f32_e64 s0, 0xc2b17218, v23
	v_fma_f32 v25, 0xbfb8aa3b, v23, -v24
	v_rndne_f32_e32 v26, v24
	v_fmac_f32_e32 v25, 0xb2a5705f, v23
	v_sub_f32_e32 v24, v24, v26
	v_add_f32_e32 v24, v24, v25
	v_cvt_i32_f32_e32 v25, v26
	v_exp_f32_e32 v24, v24
	v_ldexp_f32 v24, v24, v25
	v_cndmask_b32_e32 v23, 0, v24, vcc_lo
	v_cndmask_b32_e64 v23, 0x7f800000, v23, s0
	v_add_f32_e32 v23, 1.0, v23
	v_div_scale_f32 v24, null, v23, v23, 1.0
	v_rcp_f32_e32 v25, v24
	v_fma_f32 v26, -v24, v25, 1.0
	v_fmac_f32_e32 v25, v26, v25
	v_div_scale_f32 v26, vcc_lo, 1.0, v23, 1.0
	v_mul_f32_e32 v27, v26, v25
	v_fma_f32 v28, -v24, v27, v26
	v_fmac_f32_e32 v27, v28, v25
	v_fma_f32 v24, -v24, v27, v26
	v_div_fmas_f32 v24, v24, v25, v27
	v_div_fixup_f32 v21, v24, v23, 1.0
	v_fmac_f32_e32 v15, v10, v21
                                        ; implicit-def: $vgpr10
	v_cmp_ngt_f32_e64 s0, 0x3f200000, |v15|
	s_and_saveexec_b32 s20, s0
	s_xor_b32 s0, exec_lo, s20
	s_cbranch_execz .LBB0_41
; %bb.40:                               ;   in Loop: Header=BB0_3 Depth=1
	v_add_f32_e64 v10, |v15|, |v15|
	v_mul_f32_e32 v16, 0x3fb8aa3b, v10
	v_cmp_ngt_f32_e32 vcc_lo, 0xc2ce8ed0, v10
	v_rndne_f32_e32 v21, v16
	v_fma_f32 v22, 0x3fb8aa3b, v10, -v16
	v_sub_f32_e32 v16, v16, v21
	v_fmac_f32_e32 v22, 0x32a5705f, v10
	v_cvt_i32_f32_e32 v21, v21
	v_add_f32_e32 v16, v16, v22
	v_exp_f32_e32 v16, v16
	v_ldexp_f32 v16, v16, v21
	v_cndmask_b32_e32 v16, 0, v16, vcc_lo
	v_cmp_nlt_f32_e32 vcc_lo, 0x42b17218, v10
	v_cndmask_b32_e32 v10, 0x7f800000, v16, vcc_lo
	v_add_f32_e32 v10, 1.0, v10
	v_rcp_f32_e32 v10, v10
	v_fma_f32 v10, v10, -2.0, 1.0
.LBB0_41:                               ;   in Loop: Header=BB0_3 Depth=1
	s_andn2_saveexec_b32 s0, s0
	s_cbranch_execz .LBB0_2
; %bb.42:                               ;   in Loop: Header=BB0_3 Depth=1
	v_mul_f32_e32 v10, v15, v15
	v_fmaak_f32 v16, s23, v10, 0x3ca908c9
	v_fmaak_f32 v16, v10, v16, 0xbd5c1c4e
	;; [unrolled: 1-line block ×4, first 2 shown]
	v_mul_f32_e64 v16, |v15|, v16
	v_fma_f32 v10, v10, v16, |v15|
	s_branch .LBB0_2
.LBB0_43:
	s_endpgm
	.section	.rodata,"a",@progbits
	.p2align	6, 0x0
	.amdhsa_kernel _Z14lstm_inferencePKfS0_S0_S0_S0_S0_Pf
		.amdhsa_group_segment_fixed_size 0
		.amdhsa_private_segment_fixed_size 0
		.amdhsa_kernarg_size 312
		.amdhsa_user_sgpr_count 6
		.amdhsa_user_sgpr_private_segment_buffer 1
		.amdhsa_user_sgpr_dispatch_ptr 0
		.amdhsa_user_sgpr_queue_ptr 0
		.amdhsa_user_sgpr_kernarg_segment_ptr 1
		.amdhsa_user_sgpr_dispatch_id 0
		.amdhsa_user_sgpr_flat_scratch_init 0
		.amdhsa_user_sgpr_private_segment_size 0
		.amdhsa_wavefront_size32 1
		.amdhsa_uses_dynamic_stack 0
		.amdhsa_system_sgpr_private_segment_wavefront_offset 0
		.amdhsa_system_sgpr_workgroup_id_x 1
		.amdhsa_system_sgpr_workgroup_id_y 0
		.amdhsa_system_sgpr_workgroup_id_z 0
		.amdhsa_system_sgpr_workgroup_info 0
		.amdhsa_system_vgpr_workitem_id 0
		.amdhsa_next_free_vgpr 37
		.amdhsa_next_free_sgpr 100
		.amdhsa_reserve_vcc 1
		.amdhsa_reserve_flat_scratch 0
		.amdhsa_float_round_mode_32 0
		.amdhsa_float_round_mode_16_64 0
		.amdhsa_float_denorm_mode_32 3
		.amdhsa_float_denorm_mode_16_64 3
		.amdhsa_dx10_clamp 1
		.amdhsa_ieee_mode 1
		.amdhsa_fp16_overflow 0
		.amdhsa_workgroup_processor_mode 1
		.amdhsa_memory_ordered 1
		.amdhsa_forward_progress 1
		.amdhsa_shared_vgpr_count 0
		.amdhsa_exception_fp_ieee_invalid_op 0
		.amdhsa_exception_fp_denorm_src 0
		.amdhsa_exception_fp_ieee_div_zero 0
		.amdhsa_exception_fp_ieee_overflow 0
		.amdhsa_exception_fp_ieee_underflow 0
		.amdhsa_exception_fp_ieee_inexact 0
		.amdhsa_exception_int_div_zero 0
	.end_amdhsa_kernel
	.text
.Lfunc_end0:
	.size	_Z14lstm_inferencePKfS0_S0_S0_S0_S0_Pf, .Lfunc_end0-_Z14lstm_inferencePKfS0_S0_S0_S0_S0_Pf
                                        ; -- End function
	.set _Z14lstm_inferencePKfS0_S0_S0_S0_S0_Pf.num_vgpr, 37
	.set _Z14lstm_inferencePKfS0_S0_S0_S0_S0_Pf.num_agpr, 0
	.set _Z14lstm_inferencePKfS0_S0_S0_S0_S0_Pf.numbered_sgpr, 100
	.set _Z14lstm_inferencePKfS0_S0_S0_S0_S0_Pf.num_named_barrier, 0
	.set _Z14lstm_inferencePKfS0_S0_S0_S0_S0_Pf.private_seg_size, 0
	.set _Z14lstm_inferencePKfS0_S0_S0_S0_S0_Pf.uses_vcc, 1
	.set _Z14lstm_inferencePKfS0_S0_S0_S0_S0_Pf.uses_flat_scratch, 0
	.set _Z14lstm_inferencePKfS0_S0_S0_S0_S0_Pf.has_dyn_sized_stack, 0
	.set _Z14lstm_inferencePKfS0_S0_S0_S0_S0_Pf.has_recursion, 0
	.set _Z14lstm_inferencePKfS0_S0_S0_S0_S0_Pf.has_indirect_call, 0
	.section	.AMDGPU.csdata,"",@progbits
; Kernel info:
; codeLenInByte = 9724
; TotalNumSgprs: 102
; NumVgprs: 37
; ScratchSize: 0
; MemoryBound: 1
; FloatMode: 240
; IeeeMode: 1
; LDSByteSize: 0 bytes/workgroup (compile time only)
; SGPRBlocks: 0
; VGPRBlocks: 4
; NumSGPRsForWavesPerEU: 102
; NumVGPRsForWavesPerEU: 37
; Occupancy: 16
; WaveLimiterHint : 0
; COMPUTE_PGM_RSRC2:SCRATCH_EN: 0
; COMPUTE_PGM_RSRC2:USER_SGPR: 6
; COMPUTE_PGM_RSRC2:TRAP_HANDLER: 0
; COMPUTE_PGM_RSRC2:TGID_X_EN: 1
; COMPUTE_PGM_RSRC2:TGID_Y_EN: 0
; COMPUTE_PGM_RSRC2:TGID_Z_EN: 0
; COMPUTE_PGM_RSRC2:TIDIG_COMP_CNT: 0
	.text
	.p2alignl 6, 3214868480
	.fill 48, 4, 3214868480
	.section	.AMDGPU.gpr_maximums,"",@progbits
	.set amdgpu.max_num_vgpr, 0
	.set amdgpu.max_num_agpr, 0
	.set amdgpu.max_num_sgpr, 0
	.text
	.type	__hip_cuid_88aad69992869223,@object ; @__hip_cuid_88aad69992869223
	.section	.bss,"aw",@nobits
	.globl	__hip_cuid_88aad69992869223
__hip_cuid_88aad69992869223:
	.byte	0                               ; 0x0
	.size	__hip_cuid_88aad69992869223, 1

	.ident	"AMD clang version 22.0.0git (https://github.com/RadeonOpenCompute/llvm-project roc-7.2.4 26084 f58b06dce1f9c15707c5f808fd002e18c2accf7e)"
	.section	".note.GNU-stack","",@progbits
	.addrsig
	.addrsig_sym __hip_cuid_88aad69992869223
	.amdgpu_metadata
---
amdhsa.kernels:
  - .args:
      - .actual_access:  read_only
        .address_space:  global
        .offset:         0
        .size:           8
        .value_kind:     global_buffer
      - .actual_access:  read_only
        .address_space:  global
        .offset:         8
        .size:           8
        .value_kind:     global_buffer
      - .actual_access:  read_only
        .address_space:  global
        .offset:         16
        .size:           8
        .value_kind:     global_buffer
      - .actual_access:  read_only
        .address_space:  global
        .offset:         24
        .size:           8
        .value_kind:     global_buffer
      - .actual_access:  read_only
        .address_space:  global
        .offset:         32
        .size:           8
        .value_kind:     global_buffer
      - .actual_access:  read_only
        .address_space:  global
        .offset:         40
        .size:           8
        .value_kind:     global_buffer
      - .actual_access:  write_only
        .address_space:  global
        .offset:         48
        .size:           8
        .value_kind:     global_buffer
      - .offset:         56
        .size:           4
        .value_kind:     hidden_block_count_x
      - .offset:         60
        .size:           4
        .value_kind:     hidden_block_count_y
      - .offset:         64
        .size:           4
        .value_kind:     hidden_block_count_z
      - .offset:         68
        .size:           2
        .value_kind:     hidden_group_size_x
      - .offset:         70
        .size:           2
        .value_kind:     hidden_group_size_y
      - .offset:         72
        .size:           2
        .value_kind:     hidden_group_size_z
      - .offset:         74
        .size:           2
        .value_kind:     hidden_remainder_x
      - .offset:         76
        .size:           2
        .value_kind:     hidden_remainder_y
      - .offset:         78
        .size:           2
        .value_kind:     hidden_remainder_z
      - .offset:         96
        .size:           8
        .value_kind:     hidden_global_offset_x
      - .offset:         104
        .size:           8
        .value_kind:     hidden_global_offset_y
      - .offset:         112
        .size:           8
        .value_kind:     hidden_global_offset_z
      - .offset:         120
        .size:           2
        .value_kind:     hidden_grid_dims
    .group_segment_fixed_size: 0
    .kernarg_segment_align: 8
    .kernarg_segment_size: 312
    .language:       OpenCL C
    .language_version:
      - 2
      - 0
    .max_flat_workgroup_size: 1024
    .name:           _Z14lstm_inferencePKfS0_S0_S0_S0_S0_Pf
    .private_segment_fixed_size: 0
    .sgpr_count:     102
    .sgpr_spill_count: 104
    .symbol:         _Z14lstm_inferencePKfS0_S0_S0_S0_S0_Pf.kd
    .uniform_work_group_size: 1
    .uses_dynamic_stack: false
    .vgpr_count:     37
    .vgpr_spill_count: 0
    .wavefront_size: 32
    .workgroup_processor_mode: 1
amdhsa.target:   amdgcn-amd-amdhsa--gfx1030
amdhsa.version:
  - 1
  - 2
...

	.end_amdgpu_metadata
